;; amdgpu-corpus repo=ROCm/rocFFT kind=compiled arch=gfx1030 opt=O3
	.text
	.amdgcn_target "amdgcn-amd-amdhsa--gfx1030"
	.amdhsa_code_object_version 6
	.protected	bluestein_single_back_len1568_dim1_dp_op_CI_CI ; -- Begin function bluestein_single_back_len1568_dim1_dp_op_CI_CI
	.globl	bluestein_single_back_len1568_dim1_dp_op_CI_CI
	.p2align	8
	.type	bluestein_single_back_len1568_dim1_dp_op_CI_CI,@function
bluestein_single_back_len1568_dim1_dp_op_CI_CI: ; @bluestein_single_back_len1568_dim1_dp_op_CI_CI
; %bb.0:
	s_load_dwordx4 s[8:11], s[4:5], 0x28
	v_mul_u32_u24_e32 v1, 0x125, v0
	v_mov_b32_e32 v121, 0
	s_mov_b32 s0, exec_lo
	v_lshrrev_b32_e32 v1, 16, v1
	v_add_nc_u32_e32 v120, s6, v1
	s_waitcnt lgkmcnt(0)
	v_cmpx_gt_u64_e64 s[8:9], v[120:121]
	s_cbranch_execz .LBB0_47
; %bb.1:
	s_clause 0x1
	s_load_dwordx4 s[0:3], s[4:5], 0x18
	s_load_dwordx2 s[6:7], s[4:5], 0x0
	v_mul_lo_u16 v1, 0xe0, v1
	v_sub_nc_u16 v74, v0, v1
	v_and_b32_e32 v124, 0xffff, v74
	v_lshlrev_b32_e32 v121, 4, v124
	s_waitcnt lgkmcnt(0)
	s_load_dwordx4 s[12:15], s[0:1], 0x0
	v_add_co_u32 v122, s0, s6, v121
	v_add_co_ci_u32_e64 v123, null, s7, 0, s0
	global_load_dwordx4 v[0:3], v121, s[6:7]
	v_add_co_u32 v4, vcc_lo, 0x3000, v122
	v_add_co_ci_u32_e32 v5, vcc_lo, 0, v123, vcc_lo
	v_add_co_u32 v8, vcc_lo, 0x800, v122
	v_add_co_ci_u32_e32 v9, vcc_lo, 0, v123, vcc_lo
	v_add_co_u32 v16, vcc_lo, 0x3800, v122
	v_add_co_ci_u32_e32 v17, vcc_lo, 0, v123, vcc_lo
	v_add_co_u32 v18, vcc_lo, 0x1800, v122
	s_waitcnt lgkmcnt(0)
	v_mad_u64_u32 v[12:13], null, s14, v120, 0
	v_mad_u64_u32 v[14:15], null, s12, v124, 0
	v_add_co_ci_u32_e32 v19, vcc_lo, 0, v123, vcc_lo
	s_mul_i32 s1, s13, 0x310
	s_mul_hi_u32 s7, s12, 0x310
	v_mov_b32_e32 v6, v13
	s_mul_i32 s0, s12, 0x310
	v_mov_b32_e32 v10, v15
	s_mul_hi_u32 s9, s12, 0xfffffdd0
	s_add_i32 s1, s7, s1
	v_mad_u64_u32 v[20:21], null, s15, v120, v[6:7]
	v_mad_u64_u32 v[23:24], null, s13, v124, v[10:11]
	v_add_co_u32 v21, vcc_lo, 0x4800, v122
	v_add_co_ci_u32_e32 v22, vcc_lo, 0, v123, vcc_lo
	v_mov_b32_e32 v13, v20
	s_mul_i32 s8, s13, 0xfffffdd0
	v_mov_b32_e32 v15, v23
	s_mul_i32 s6, s12, 0xfffffdd0
	s_sub_i32 s7, s9, s12
	v_lshlrev_b64 v[12:13], 4, v[12:13]
	s_lshl_b64 s[12:13], s[0:1], 4
	v_lshlrev_b64 v[14:15], 4, v[14:15]
	s_add_i32 s7, s7, s8
	s_clause 0x1
	global_load_dwordx4 v[4:7], v[4:5], off offset:256
	global_load_dwordx4 v[8:11], v[8:9], off offset:1536
	v_add_co_u32 v12, vcc_lo, s10, v12
	v_add_co_ci_u32_e32 v13, vcc_lo, s11, v13, vcc_lo
	s_lshl_b64 s[0:1], s[6:7], 4
	v_add_co_u32 v23, vcc_lo, v12, v14
	v_add_co_ci_u32_e32 v24, vcc_lo, v13, v15, vcc_lo
	global_load_dwordx4 v[12:15], v[16:17], off offset:1792
	v_add_co_u32 v30, vcc_lo, v23, s12
	v_add_co_ci_u32_e32 v31, vcc_lo, s13, v24, vcc_lo
	v_add_co_u32 v34, vcc_lo, v30, s0
	v_add_co_ci_u32_e32 v35, vcc_lo, s1, v31, vcc_lo
	s_clause 0x1
	global_load_dwordx4 v[26:29], v[23:24], off
	global_load_dwordx4 v[30:33], v[30:31], off
	v_add_co_u32 v16, vcc_lo, v34, s12
	v_add_co_ci_u32_e32 v17, vcc_lo, s13, v35, vcc_lo
	global_load_dwordx4 v[34:37], v[34:35], off
	v_add_co_u32 v42, vcc_lo, v16, s0
	v_add_co_ci_u32_e32 v43, vcc_lo, s1, v17, vcc_lo
	v_add_co_u32 v24, vcc_lo, v42, s12
	v_add_co_ci_u32_e32 v25, vcc_lo, s13, v43, vcc_lo
	s_clause 0x1
	global_load_dwordx4 v[38:41], v[16:17], off
	global_load_dwordx4 v[42:45], v[42:43], off
	s_clause 0x1
	global_load_dwordx4 v[16:19], v[18:19], off offset:1024
	global_load_dwordx4 v[20:23], v[21:22], off offset:1280
	global_load_dwordx4 v[46:49], v[24:25], off
	s_load_dwordx2 s[6:7], s[4:5], 0x38
	s_load_dwordx4 s[8:11], s[2:3], 0x0
	v_cmp_gt_u16_e32 vcc_lo, 0x70, v74
	s_waitcnt vmcnt(7)
	v_mul_f64 v[50:51], v[28:29], v[2:3]
	v_mul_f64 v[52:53], v[26:27], v[2:3]
	s_waitcnt vmcnt(6)
	v_mul_f64 v[54:55], v[32:33], v[6:7]
	v_mul_f64 v[56:57], v[30:31], v[6:7]
	;; [unrolled: 3-line block ×6, first 2 shown]
	v_fma_f64 v[26:27], v[26:27], v[0:1], v[50:51]
	v_fma_f64 v[28:29], v[28:29], v[0:1], -v[52:53]
	v_fma_f64 v[30:31], v[30:31], v[4:5], v[54:55]
	v_fma_f64 v[32:33], v[32:33], v[4:5], -v[56:57]
	ds_write_b128 v121, v[26:29]
	ds_write_b128 v121, v[30:33] offset:12544
	v_fma_f64 v[34:35], v[34:35], v[8:9], v[58:59]
	v_fma_f64 v[36:37], v[36:37], v[8:9], -v[60:61]
	v_fma_f64 v[38:39], v[38:39], v[12:13], v[62:63]
	v_fma_f64 v[40:41], v[40:41], v[12:13], -v[64:65]
	;; [unrolled: 2-line block ×4, first 2 shown]
	ds_write_b128 v121, v[34:37] offset:3584
	ds_write_b128 v121, v[38:41] offset:16128
	;; [unrolled: 1-line block ×4, first 2 shown]
	s_and_saveexec_b32 s2, vcc_lo
	s_cbranch_execz .LBB0_3
; %bb.2:
	v_add_co_u32 v24, s0, v24, s0
	v_add_co_ci_u32_e64 v25, s0, s1, v25, s0
	v_add_co_u32 v28, s0, 0x2800, v122
	v_add_co_ci_u32_e64 v29, s0, 0, v123, s0
	;; [unrolled: 2-line block ×4, first 2 shown]
	global_load_dwordx4 v[24:27], v[24:25], off
	s_clause 0x1
	global_load_dwordx4 v[28:31], v[28:29], off offset:512
	global_load_dwordx4 v[32:35], v[32:33], off offset:768
	global_load_dwordx4 v[36:39], v[36:37], off
	s_waitcnt vmcnt(2)
	v_mul_f64 v[40:41], v[26:27], v[30:31]
	v_mul_f64 v[30:31], v[24:25], v[30:31]
	s_waitcnt vmcnt(0)
	v_mul_f64 v[42:43], v[38:39], v[34:35]
	v_mul_f64 v[34:35], v[36:37], v[34:35]
	v_fma_f64 v[24:25], v[24:25], v[28:29], v[40:41]
	v_fma_f64 v[26:27], v[26:27], v[28:29], -v[30:31]
	v_fma_f64 v[28:29], v[36:37], v[32:33], v[42:43]
	v_fma_f64 v[30:31], v[38:39], v[32:33], -v[34:35]
	ds_write_b128 v121, v[24:27] offset:10752
	ds_write_b128 v121, v[28:31] offset:23296
.LBB0_3:
	s_or_b32 exec_lo, exec_lo, s2
	s_waitcnt lgkmcnt(0)
	s_barrier
	buffer_gl0_inv
	ds_read_b128 v[24:27], v121
	ds_read_b128 v[28:31], v121 offset:3584
	ds_read_b128 v[52:55], v121 offset:12544
	;; [unrolled: 1-line block ×5, first 2 shown]
                                        ; implicit-def: $vgpr40_vgpr41
                                        ; implicit-def: $vgpr44_vgpr45
	s_and_saveexec_b32 s0, vcc_lo
	s_cbranch_execz .LBB0_5
; %bb.4:
	ds_read_b128 v[40:43], v121 offset:10752
	ds_read_b128 v[44:47], v121 offset:23296
.LBB0_5:
	s_or_b32 exec_lo, exec_lo, s0
	s_waitcnt lgkmcnt(3)
	v_add_f64 v[52:53], v[24:25], -v[52:53]
	v_add_f64 v[54:55], v[26:27], -v[54:55]
	s_waitcnt lgkmcnt(0)
	v_add_f64 v[56:57], v[36:37], -v[32:33]
	v_add_f64 v[58:59], v[38:39], -v[34:35]
	;; [unrolled: 1-line block ×6, first 2 shown]
	s_load_dwordx2 s[0:1], s[4:5], 0x8
	v_lshlrev_b32_e32 v72, 1, v124
	v_add_co_u32 v60, null, 0x2a0, v124
	v_lshlrev_b32_e32 v132, 5, v124
	s_waitcnt lgkmcnt(0)
	v_add_nc_u32_e32 v73, 0x1c0, v72
	v_add_nc_u32_e32 v74, 0x380, v72
	v_lshlrev_b32_e32 v130, 5, v60
	s_barrier
	buffer_gl0_inv
	v_lshlrev_b32_e32 v133, 4, v73
	v_lshlrev_b32_e32 v131, 4, v74
	v_fma_f64 v[44:45], v[24:25], 2.0, -v[52:53]
	v_fma_f64 v[46:47], v[26:27], 2.0, -v[54:55]
	;; [unrolled: 1-line block ×8, first 2 shown]
	v_lshlrev_b32_e32 v40, 4, v72
	ds_write_b128 v132, v[52:55] offset:16
	ds_write_b128 v132, v[44:47]
	ds_write_b128 v40, v[28:31] offset:7168
	ds_write_b128 v133, v[48:51] offset:16
	ds_write_b128 v40, v[36:39] offset:14336
	ds_write_b128 v131, v[56:59] offset:16
	s_and_saveexec_b32 s2, vcc_lo
	s_cbranch_execz .LBB0_7
; %bb.6:
	ds_write_b128 v130, v[24:27]
	ds_write_b128 v130, v[32:35] offset:16
.LBB0_7:
	s_or_b32 exec_lo, exec_lo, s2
	s_waitcnt lgkmcnt(0)
	s_barrier
	buffer_gl0_inv
	ds_read_b128 v[40:43], v121
	ds_read_b128 v[44:47], v121 offset:3584
	ds_read_b128 v[36:39], v121 offset:12544
	;; [unrolled: 1-line block ×5, first 2 shown]
	s_and_saveexec_b32 s2, vcc_lo
	s_cbranch_execz .LBB0_9
; %bb.8:
	ds_read_b128 v[24:27], v121 offset:10752
	ds_read_b128 v[32:35], v121 offset:23296
.LBB0_9:
	s_or_b32 exec_lo, exec_lo, s2
	v_and_b32_e32 v126, 1, v124
	v_lshlrev_b32_e32 v125, 1, v60
	v_lshlrev_b32_e32 v28, 4, v126
	v_and_or_b32 v60, 0x3fc, v73, v126
	global_load_dwordx4 v[28:31], v28, s[0:1]
	v_lshlrev_b32_e32 v135, 4, v60
	s_waitcnt vmcnt(0) lgkmcnt(0)
	s_barrier
	buffer_gl0_inv
	v_mul_f64 v[61:62], v[38:39], v[30:31]
	v_mul_f64 v[63:64], v[36:37], v[30:31]
	v_mul_f64 v[65:66], v[58:59], v[30:31]
	v_mul_f64 v[67:68], v[56:57], v[30:31]
	v_mul_f64 v[77:78], v[34:35], v[30:31]
	v_mul_f64 v[79:80], v[32:33], v[30:31]
	v_mul_f64 v[69:70], v[54:55], v[30:31]
	v_mul_f64 v[75:76], v[52:53], v[30:31]
	v_fma_f64 v[36:37], v[36:37], v[28:29], -v[61:62]
	v_fma_f64 v[38:39], v[38:39], v[28:29], v[63:64]
	v_fma_f64 v[56:57], v[56:57], v[28:29], -v[65:66]
	v_fma_f64 v[58:59], v[58:59], v[28:29], v[67:68]
	;; [unrolled: 2-line block ×4, first 2 shown]
	v_add_f64 v[32:33], v[40:41], -v[36:37]
	v_add_f64 v[34:35], v[42:43], -v[38:39]
	;; [unrolled: 1-line block ×8, first 2 shown]
	v_and_or_b32 v61, 0x1fc, v72, v126
	v_and_or_b32 v62, 0x7fc, v74, v126
	v_lshlrev_b32_e32 v136, 4, v61
	v_lshlrev_b32_e32 v134, 4, v62
	v_fma_f64 v[40:41], v[40:41], 2.0, -v[32:33]
	v_fma_f64 v[42:43], v[42:43], 2.0, -v[34:35]
	;; [unrolled: 1-line block ×8, first 2 shown]
	ds_write_b128 v136, v[32:35] offset:32
	ds_write_b128 v136, v[40:43]
	ds_write_b128 v135, v[44:47]
	ds_write_b128 v135, v[52:55] offset:32
	ds_write_b128 v134, v[48:51]
	ds_write_b128 v134, v[56:59] offset:32
	s_and_saveexec_b32 s2, vcc_lo
	s_cbranch_execz .LBB0_11
; %bb.10:
	v_and_or_b32 v32, 0x7fc, v125, v126
	v_lshlrev_b32_e32 v32, 4, v32
	ds_write_b128 v32, v[24:27]
	ds_write_b128 v32, v[36:39] offset:32
.LBB0_11:
	s_or_b32 exec_lo, exec_lo, s2
	s_waitcnt lgkmcnt(0)
	s_barrier
	buffer_gl0_inv
	ds_read_b128 v[44:47], v121
	ds_read_b128 v[48:51], v121 offset:3584
	ds_read_b128 v[40:43], v121 offset:12544
	;; [unrolled: 1-line block ×5, first 2 shown]
	s_and_saveexec_b32 s2, vcc_lo
	s_cbranch_execz .LBB0_13
; %bb.12:
	ds_read_b128 v[24:27], v121 offset:10752
	ds_read_b128 v[36:39], v121 offset:23296
.LBB0_13:
	s_or_b32 exec_lo, exec_lo, s2
	v_and_b32_e32 v127, 3, v124
	v_lshlrev_b32_e32 v32, 4, v127
	global_load_dwordx4 v[32:35], v32, s[0:1] offset:32
	s_waitcnt vmcnt(0) lgkmcnt(0)
	s_barrier
	buffer_gl0_inv
	v_mul_f64 v[64:65], v[42:43], v[34:35]
	v_mul_f64 v[66:67], v[40:41], v[34:35]
	;; [unrolled: 1-line block ×8, first 2 shown]
	v_fma_f64 v[40:41], v[40:41], v[32:33], -v[64:65]
	v_fma_f64 v[42:43], v[42:43], v[32:33], v[66:67]
	v_fma_f64 v[60:61], v[60:61], v[32:33], -v[68:69]
	v_fma_f64 v[62:63], v[62:63], v[32:33], v[70:71]
	;; [unrolled: 2-line block ×4, first 2 shown]
	v_add_f64 v[36:37], v[44:45], -v[40:41]
	v_add_f64 v[38:39], v[46:47], -v[42:43]
	;; [unrolled: 1-line block ×8, first 2 shown]
	v_and_or_b32 v64, 0x1f8, v72, v127
	v_and_or_b32 v65, 0x3f8, v73, v127
	;; [unrolled: 1-line block ×3, first 2 shown]
	v_lshlrev_b32_e32 v139, 4, v64
	v_lshlrev_b32_e32 v138, 4, v65
	;; [unrolled: 1-line block ×3, first 2 shown]
	v_fma_f64 v[44:45], v[44:45], 2.0, -v[36:37]
	v_fma_f64 v[46:47], v[46:47], 2.0, -v[38:39]
	;; [unrolled: 1-line block ×8, first 2 shown]
	ds_write_b128 v139, v[36:39] offset:64
	ds_write_b128 v139, v[44:47]
	ds_write_b128 v138, v[48:51]
	ds_write_b128 v138, v[56:59] offset:64
	ds_write_b128 v137, v[52:55]
	ds_write_b128 v137, v[60:63] offset:64
	s_and_saveexec_b32 s2, vcc_lo
	s_cbranch_execz .LBB0_15
; %bb.14:
	v_and_or_b32 v36, 0x7f8, v125, v127
	v_lshlrev_b32_e32 v36, 4, v36
	ds_write_b128 v36, v[24:27]
	ds_write_b128 v36, v[40:43] offset:64
.LBB0_15:
	s_or_b32 exec_lo, exec_lo, s2
	s_waitcnt lgkmcnt(0)
	s_barrier
	buffer_gl0_inv
	ds_read_b128 v[48:51], v121
	ds_read_b128 v[52:55], v121 offset:3584
	ds_read_b128 v[44:47], v121 offset:12544
	;; [unrolled: 1-line block ×5, first 2 shown]
	s_and_saveexec_b32 s2, vcc_lo
	s_cbranch_execz .LBB0_17
; %bb.16:
	ds_read_b128 v[24:27], v121 offset:10752
	ds_read_b128 v[40:43], v121 offset:23296
.LBB0_17:
	s_or_b32 exec_lo, exec_lo, s2
	v_and_b32_e32 v128, 7, v124
	v_lshlrev_b32_e32 v36, 4, v128
	global_load_dwordx4 v[36:39], v36, s[0:1] offset:96
	s_waitcnt vmcnt(0) lgkmcnt(0)
	s_barrier
	buffer_gl0_inv
	v_mul_f64 v[68:69], v[46:47], v[38:39]
	v_mul_f64 v[70:71], v[44:45], v[38:39]
	;; [unrolled: 1-line block ×8, first 2 shown]
	v_fma_f64 v[44:45], v[44:45], v[36:37], -v[68:69]
	v_fma_f64 v[46:47], v[46:47], v[36:37], v[70:71]
	v_fma_f64 v[40:41], v[40:41], v[36:37], -v[83:84]
	v_fma_f64 v[42:43], v[42:43], v[36:37], v[85:86]
	;; [unrolled: 2-line block ×4, first 2 shown]
	v_add_f64 v[60:61], v[48:49], -v[44:45]
	v_add_f64 v[62:63], v[50:51], -v[46:47]
	;; [unrolled: 1-line block ×8, first 2 shown]
	v_fma_f64 v[48:49], v[48:49], 2.0, -v[60:61]
	v_fma_f64 v[50:51], v[50:51], 2.0, -v[62:63]
	;; [unrolled: 1-line block ×8, first 2 shown]
	v_and_or_b32 v24, 0x1f0, v72, v128
	v_and_or_b32 v25, 0x3f0, v73, v128
	;; [unrolled: 1-line block ×3, first 2 shown]
	v_lshlrev_b32_e32 v142, 4, v24
	v_lshlrev_b32_e32 v141, 4, v25
	;; [unrolled: 1-line block ×3, first 2 shown]
	ds_write_b128 v142, v[60:63] offset:128
	ds_write_b128 v142, v[48:51]
	ds_write_b128 v141, v[52:55]
	ds_write_b128 v141, v[64:67] offset:128
	ds_write_b128 v140, v[56:59]
	ds_write_b128 v140, v[68:71] offset:128
	s_and_saveexec_b32 s2, vcc_lo
	s_cbranch_execz .LBB0_19
; %bb.18:
	v_and_or_b32 v24, 0x7f0, v125, v128
	v_lshlrev_b32_e32 v24, 4, v24
	ds_write_b128 v24, v[40:43]
	ds_write_b128 v24, v[44:47] offset:128
.LBB0_19:
	s_or_b32 exec_lo, exec_lo, s2
	s_waitcnt lgkmcnt(0)
	s_barrier
	buffer_gl0_inv
	ds_read_b128 v[52:55], v121
	ds_read_b128 v[56:59], v121 offset:3584
	ds_read_b128 v[60:63], v121 offset:12544
	ds_read_b128 v[48:51], v121 offset:7168
	ds_read_b128 v[68:71], v121 offset:16128
	ds_read_b128 v[64:67], v121 offset:19712
	s_and_saveexec_b32 s2, vcc_lo
	s_cbranch_execz .LBB0_21
; %bb.20:
	ds_read_b128 v[40:43], v121 offset:10752
	ds_read_b128 v[44:47], v121 offset:23296
.LBB0_21:
	s_or_b32 exec_lo, exec_lo, s2
	v_and_b32_e32 v129, 15, v124
	v_lshlrev_b32_e32 v24, 4, v129
	global_load_dwordx4 v[24:27], v24, s[0:1] offset:224
	s_waitcnt vmcnt(0) lgkmcnt(0)
	s_barrier
	buffer_gl0_inv
	v_mul_f64 v[75:76], v[62:63], v[26:27]
	v_mul_f64 v[77:78], v[60:61], v[26:27]
	;; [unrolled: 1-line block ×6, first 2 shown]
	v_fma_f64 v[60:61], v[60:61], v[24:25], -v[75:76]
	v_fma_f64 v[62:63], v[62:63], v[24:25], v[77:78]
	v_fma_f64 v[68:69], v[68:69], v[24:25], -v[79:80]
	v_fma_f64 v[70:71], v[70:71], v[24:25], v[81:82]
	;; [unrolled: 2-line block ×3, first 2 shown]
	v_mul_f64 v[79:80], v[46:47], v[26:27]
	v_mul_f64 v[81:82], v[44:45], v[26:27]
	v_add_f64 v[60:61], v[52:53], -v[60:61]
	v_add_f64 v[62:63], v[54:55], -v[62:63]
	;; [unrolled: 1-line block ×6, first 2 shown]
	v_fma_f64 v[75:76], v[44:45], v[24:25], -v[79:80]
	v_fma_f64 v[77:78], v[46:47], v[24:25], v[81:82]
	v_fma_f64 v[44:45], v[52:53], 2.0, -v[60:61]
	v_fma_f64 v[46:47], v[54:55], 2.0, -v[62:63]
	;; [unrolled: 1-line block ×6, first 2 shown]
	v_add_f64 v[88:89], v[40:41], -v[75:76]
	v_add_f64 v[90:91], v[42:43], -v[77:78]
	v_and_or_b32 v56, 0x1e0, v72, v129
	v_and_or_b32 v57, 0x3e0, v73, v129
	;; [unrolled: 1-line block ×3, first 2 shown]
	v_lshlrev_b32_e32 v145, 4, v56
	v_lshlrev_b32_e32 v144, 4, v57
	;; [unrolled: 1-line block ×3, first 2 shown]
	ds_write_b128 v145, v[60:63] offset:256
	ds_write_b128 v145, v[44:47]
	ds_write_b128 v144, v[52:55]
	ds_write_b128 v144, v[64:67] offset:256
	ds_write_b128 v143, v[48:51]
	ds_write_b128 v143, v[68:71] offset:256
	s_and_saveexec_b32 s2, vcc_lo
	s_cbranch_execz .LBB0_23
; %bb.22:
	v_fma_f64 v[42:43], v[42:43], 2.0, -v[90:91]
	v_fma_f64 v[40:41], v[40:41], 2.0, -v[88:89]
	v_and_or_b32 v44, 0x7e0, v125, v129
	v_lshlrev_b32_e32 v44, 4, v44
	ds_write_b128 v44, v[40:43]
	ds_write_b128 v44, v[88:91] offset:256
.LBB0_23:
	s_or_b32 exec_lo, exec_lo, s2
	v_and_b32_e32 v64, 31, v124
	s_waitcnt lgkmcnt(0)
	s_barrier
	buffer_gl0_inv
	s_mov_b32 s4, 0x37e14327
	v_mad_u64_u32 v[52:53], null, 0x60, v64, s[0:1]
	s_mov_b32 s16, 0xe976ee23
	s_mov_b32 s5, 0x3fe948f6
	;; [unrolled: 1-line block ×6, first 2 shown]
	s_clause 0x5
	global_load_dwordx4 v[44:47], v[52:53], off offset:480
	global_load_dwordx4 v[40:43], v[52:53], off offset:496
	;; [unrolled: 1-line block ×6, first 2 shown]
	ds_read_b128 v[65:68], v121 offset:3584
	ds_read_b128 v[69:72], v121 offset:7168
	ds_read_b128 v[73:76], v121 offset:21504
	ds_read_b128 v[77:80], v121 offset:17920
	ds_read_b128 v[81:84], v121 offset:10752
	ds_read_b128 v[92:95], v121 offset:14336
	ds_read_b128 v[96:99], v121
	s_mov_b32 s3, 0x3fac98ee
	s_mov_b32 s14, 0xaaaaaaaa
	s_mov_b32 s22, 0xb247c609
	s_mov_b32 s15, 0xbff2aaaa
	s_mov_b32 s18, 0x5476071b
	s_mov_b32 s23, 0x3fd5d0dc
	s_mov_b32 s19, 0x3fe77f67
	s_mov_b32 s21, 0xbfe77f67
	s_mov_b32 s25, 0xbfd5d0dc
	s_mov_b32 s20, s18
	s_mov_b32 s24, s22
	s_mov_b32 s26, 0x37c3f68c
	s_mov_b32 s27, 0x3fdc38aa
	s_waitcnt vmcnt(0) lgkmcnt(0)
	s_barrier
	buffer_gl0_inv
	v_mul_f64 v[85:86], v[67:68], v[46:47]
	v_mul_f64 v[100:101], v[65:66], v[46:47]
	;; [unrolled: 1-line block ×12, first 2 shown]
	v_fma_f64 v[65:66], v[65:66], v[44:45], -v[85:86]
	v_fma_f64 v[67:68], v[67:68], v[44:45], v[100:101]
	v_fma_f64 v[69:70], v[69:70], v[40:41], -v[102:103]
	v_fma_f64 v[71:72], v[71:72], v[40:41], v[104:105]
	;; [unrolled: 2-line block ×6, first 2 shown]
	v_add_f64 v[94:95], v[65:66], v[73:74]
	v_add_f64 v[100:101], v[67:68], v[75:76]
	;; [unrolled: 1-line block ×4, first 2 shown]
	v_add_f64 v[69:70], v[69:70], -v[77:78]
	v_add_f64 v[71:72], v[71:72], -v[79:80]
	v_add_f64 v[77:78], v[81:82], v[85:86]
	v_add_f64 v[79:80], v[83:84], v[92:93]
	v_add_f64 v[81:82], v[85:86], -v[81:82]
	v_add_f64 v[83:84], v[92:93], -v[83:84]
	;; [unrolled: 1-line block ×4, first 2 shown]
	v_add_f64 v[65:66], v[102:103], v[94:95]
	v_add_f64 v[67:68], v[104:105], v[100:101]
	v_add_f64 v[85:86], v[94:95], -v[77:78]
	v_add_f64 v[92:93], v[100:101], -v[79:80]
	v_add_f64 v[106:107], v[81:82], -v[69:70]
	v_add_f64 v[108:109], v[83:84], -v[71:72]
	v_add_f64 v[110:111], v[69:70], -v[73:74]
	v_add_f64 v[112:113], v[71:72], -v[75:76]
	v_add_f64 v[69:70], v[81:82], v[69:70]
	v_add_f64 v[71:72], v[83:84], v[71:72]
	v_add_f64 v[81:82], v[73:74], -v[81:82]
	v_add_f64 v[83:84], v[75:76], -v[83:84]
	;; [unrolled: 1-line block ×3, first 2 shown]
	v_add_f64 v[114:115], v[77:78], v[65:66]
	v_add_f64 v[116:117], v[79:80], v[67:68]
	v_add_f64 v[77:78], v[77:78], -v[102:103]
	v_add_f64 v[79:80], v[79:80], -v[104:105]
	v_mul_f64 v[85:86], v[85:86], s[4:5]
	v_mul_f64 v[92:93], v[92:93], s[4:5]
	v_mul_f64 v[106:107], v[106:107], s[16:17]
	v_mul_f64 v[108:109], v[108:109], s[16:17]
	v_mul_f64 v[118:119], v[110:111], s[12:13]
	v_mul_f64 v[146:147], v[112:113], s[12:13]
	v_add_f64 v[69:70], v[69:70], v[73:74]
	v_add_f64 v[71:72], v[71:72], v[75:76]
	;; [unrolled: 1-line block ×4, first 2 shown]
	v_add_f64 v[96:97], v[104:105], -v[100:101]
	v_mul_f64 v[98:99], v[77:78], s[2:3]
	v_mul_f64 v[100:101], v[79:80], s[2:3]
	v_fma_f64 v[73:74], v[77:78], s[2:3], v[85:86]
	v_fma_f64 v[75:76], v[79:80], s[2:3], v[92:93]
	;; [unrolled: 1-line block ×4, first 2 shown]
	v_fma_f64 v[102:103], v[110:111], s[12:13], -v[106:107]
	v_fma_f64 v[104:105], v[112:113], s[12:13], -v[108:109]
	;; [unrolled: 1-line block ×5, first 2 shown]
	v_fma_f64 v[106:107], v[114:115], s[14:15], v[65:66]
	v_fma_f64 v[108:109], v[116:117], s[14:15], v[67:68]
	v_fma_f64 v[92:93], v[96:97], s[20:21], -v[92:93]
	v_fma_f64 v[94:95], v[94:95], s[18:19], -v[98:99]
	v_fma_f64 v[96:97], v[96:97], s[18:19], -v[100:101]
	v_fma_f64 v[98:99], v[69:70], s[26:27], v[77:78]
	v_fma_f64 v[100:101], v[71:72], s[26:27], v[79:80]
	;; [unrolled: 1-line block ×6, first 2 shown]
	v_lshrrev_b32_e32 v69, 5, v124
	v_mul_u32_u24_e32 v87, 0xe0, v69
	v_add_f64 v[114:115], v[73:74], v[106:107]
	v_add_f64 v[116:117], v[75:76], v[108:109]
	;; [unrolled: 1-line block ×6, first 2 shown]
	v_mad_u64_u32 v[106:107], null, 0x60, v124, s[0:1]
	v_or_b32_e32 v64, v87, v64
	v_lshlrev_b32_e32 v146, 4, v64
	v_add_f64 v[69:70], v[100:101], v[114:115]
	v_add_f64 v[71:72], v[116:117], -v[98:99]
	v_add_f64 v[73:74], v[112:113], v[85:86]
	v_add_f64 v[75:76], v[118:119], -v[110:111]
	v_add_f64 v[77:78], v[81:82], -v[104:105]
	v_add_f64 v[79:80], v[102:103], v[83:84]
	v_add_f64 v[81:82], v[104:105], v[81:82]
	v_add_f64 v[83:84], v[83:84], -v[102:103]
	v_add_f64 v[92:93], v[85:86], -v[112:113]
	v_add_f64 v[94:95], v[110:111], v[118:119]
	v_add_f64 v[96:97], v[114:115], -v[100:101]
	v_add_f64 v[98:99], v[98:99], v[116:117]
	v_add_co_u32 v100, s0, 0xde0, v106
	v_add_co_ci_u32_e64 v101, s0, 0, v107, s0
	v_add_co_u32 v102, s0, 0x800, v106
	v_add_co_ci_u32_e64 v103, s0, 0, v107, s0
	;; [unrolled: 2-line block ×3, first 2 shown]
	ds_write_b128 v146, v[65:68]
	ds_write_b128 v146, v[69:72] offset:512
	ds_write_b128 v146, v[73:76] offset:1024
	;; [unrolled: 1-line block ×6, first 2 shown]
	s_waitcnt lgkmcnt(0)
	s_barrier
	buffer_gl0_inv
	s_clause 0x5
	global_load_dwordx4 v[68:71], v[102:103], off offset:1504
	global_load_dwordx4 v[64:67], v[100:101], off offset:16
	global_load_dwordx4 v[84:87], v[85:86], off offset:16
	global_load_dwordx4 v[80:83], v[102:103], off offset:1568
	global_load_dwordx4 v[76:79], v[100:101], off offset:32
	global_load_dwordx4 v[72:75], v[100:101], off offset:48
	ds_read_b128 v[92:95], v121 offset:3584
	ds_read_b128 v[96:99], v121 offset:7168
	;; [unrolled: 1-line block ×6, first 2 shown]
	ds_read_b128 v[116:119], v121
	s_waitcnt vmcnt(5) lgkmcnt(6)
	v_mul_f64 v[147:148], v[94:95], v[70:71]
	v_mul_f64 v[149:150], v[92:93], v[70:71]
	s_waitcnt vmcnt(4) lgkmcnt(5)
	v_mul_f64 v[151:152], v[98:99], v[66:67]
	v_mul_f64 v[153:154], v[96:97], v[66:67]
	;; [unrolled: 3-line block ×6, first 2 shown]
	v_fma_f64 v[92:93], v[92:93], v[68:69], -v[147:148]
	v_fma_f64 v[94:95], v[94:95], v[68:69], v[149:150]
	v_fma_f64 v[96:97], v[96:97], v[64:65], -v[151:152]
	v_fma_f64 v[98:99], v[98:99], v[64:65], v[153:154]
	;; [unrolled: 2-line block ×6, first 2 shown]
	v_add_f64 v[147:148], v[92:93], v[100:101]
	v_add_f64 v[149:150], v[94:95], v[102:103]
	v_add_f64 v[151:152], v[96:97], v[104:105]
	v_add_f64 v[153:154], v[98:99], v[106:107]
	v_add_f64 v[96:97], v[96:97], -v[104:105]
	v_add_f64 v[98:99], v[98:99], -v[106:107]
	v_add_f64 v[104:105], v[108:109], v[112:113]
	v_add_f64 v[106:107], v[110:111], v[114:115]
	v_add_f64 v[108:109], v[112:113], -v[108:109]
	v_add_f64 v[110:111], v[114:115], -v[110:111]
	;; [unrolled: 1-line block ×4, first 2 shown]
	v_add_f64 v[100:101], v[151:152], v[147:148]
	v_add_f64 v[102:103], v[153:154], v[149:150]
	v_add_f64 v[112:113], v[147:148], -v[104:105]
	v_add_f64 v[114:115], v[149:150], -v[106:107]
	;; [unrolled: 1-line block ×6, first 2 shown]
	v_add_f64 v[163:164], v[108:109], v[96:97]
	v_add_f64 v[165:166], v[110:111], v[98:99]
	v_add_f64 v[108:109], v[92:93], -v[108:109]
	v_add_f64 v[110:111], v[94:95], -v[110:111]
	v_add_f64 v[100:101], v[104:105], v[100:101]
	v_add_f64 v[102:103], v[106:107], v[102:103]
	v_add_f64 v[104:105], v[104:105], -v[151:152]
	v_add_f64 v[106:107], v[106:107], -v[153:154]
	v_mul_f64 v[112:113], v[112:113], s[4:5]
	v_mul_f64 v[114:115], v[114:115], s[4:5]
	;; [unrolled: 1-line block ×6, first 2 shown]
	v_add_f64 v[92:93], v[163:164], v[92:93]
	v_add_f64 v[94:95], v[165:166], v[94:95]
	v_add_co_u32 v163, s0, 0x6000, v122
	v_add_co_ci_u32_e64 v164, s0, 0, v123, s0
	s_waitcnt lgkmcnt(0)
	v_add_f64 v[96:97], v[116:117], v[100:101]
	v_add_f64 v[98:99], v[118:119], v[102:103]
	v_add_f64 v[116:117], v[151:152], -v[147:148]
	v_add_f64 v[118:119], v[153:154], -v[149:150]
	v_mul_f64 v[147:148], v[104:105], s[2:3]
	v_mul_f64 v[149:150], v[106:107], s[2:3]
	v_fma_f64 v[104:105], v[104:105], s[2:3], v[112:113]
	v_fma_f64 v[106:107], v[106:107], s[2:3], v[114:115]
	;; [unrolled: 1-line block ×4, first 2 shown]
	v_fma_f64 v[155:156], v[159:160], s[12:13], -v[155:156]
	v_fma_f64 v[157:158], v[161:162], s[12:13], -v[157:158]
	;; [unrolled: 1-line block ×4, first 2 shown]
	v_fma_f64 v[100:101], v[100:101], s[14:15], v[96:97]
	v_fma_f64 v[102:103], v[102:103], s[14:15], v[98:99]
	v_fma_f64 v[112:113], v[116:117], s[20:21], -v[112:113]
	v_fma_f64 v[114:115], v[118:119], s[20:21], -v[114:115]
	;; [unrolled: 1-line block ×4, first 2 shown]
	v_fma_f64 v[147:148], v[92:93], s[26:27], v[151:152]
	v_fma_f64 v[149:150], v[94:95], s[26:27], v[153:154]
	v_fma_f64 v[151:152], v[92:93], s[26:27], v[155:156]
	v_fma_f64 v[153:154], v[94:95], s[26:27], v[157:158]
	v_fma_f64 v[92:93], v[92:93], s[26:27], v[108:109]
	v_fma_f64 v[94:95], v[94:95], s[26:27], v[110:111]
	v_add_f64 v[155:156], v[104:105], v[100:101]
	v_add_f64 v[157:158], v[106:107], v[102:103]
	;; [unrolled: 1-line block ×7, first 2 shown]
	v_add_f64 v[102:103], v[157:158], -v[147:148]
	v_add_f64 v[104:105], v[94:95], v[159:160]
	v_add_f64 v[106:107], v[161:162], -v[92:93]
	v_add_f64 v[108:109], v[112:113], -v[153:154]
	v_add_f64 v[110:111], v[151:152], v[114:115]
	v_add_f64 v[112:113], v[153:154], v[112:113]
	v_add_f64 v[114:115], v[114:115], -v[151:152]
	v_add_f64 v[116:117], v[159:160], -v[94:95]
	v_add_f64 v[118:119], v[92:93], v[161:162]
	v_add_f64 v[92:93], v[155:156], -v[149:150]
	v_add_f64 v[94:95], v[147:148], v[157:158]
	v_add_co_u32 v147, s0, 0x9000, v122
	v_add_co_ci_u32_e64 v148, s0, 0, v123, s0
	v_add_co_u32 v149, s0, 0x7000, v122
	v_add_co_ci_u32_e64 v150, s0, 0, v123, s0
	;; [unrolled: 2-line block ×4, first 2 shown]
	ds_write_b128 v121, v[96:99]
	ds_write_b128 v121, v[100:103] offset:3584
	ds_write_b128 v121, v[104:107] offset:7168
	;; [unrolled: 1-line block ×6, first 2 shown]
	v_add_co_u32 v116, s0, 0xa800, v122
	s_waitcnt lgkmcnt(0)
	s_barrier
	buffer_gl0_inv
	s_clause 0x2
	global_load_dwordx4 v[96:99], v[163:164], off offset:512
	global_load_dwordx4 v[100:103], v[147:148], off offset:768
	global_load_dwordx4 v[104:107], v[149:150], off
	v_add_co_ci_u32_e64 v117, s0, 0, v123, s0
	s_clause 0x2
	global_load_dwordx4 v[108:111], v[151:152], off offset:256
	global_load_dwordx4 v[112:115], v[153:154], off offset:1536
	;; [unrolled: 1-line block ×3, first 2 shown]
	ds_read_b128 v[147:150], v121
	ds_read_b128 v[151:154], v121 offset:12544
	ds_read_b128 v[155:158], v121 offset:3584
	;; [unrolled: 1-line block ×5, first 2 shown]
	s_waitcnt vmcnt(5) lgkmcnt(5)
	v_mul_f64 v[171:172], v[149:150], v[98:99]
	v_mul_f64 v[98:99], v[147:148], v[98:99]
	s_waitcnt vmcnt(4) lgkmcnt(4)
	v_mul_f64 v[173:174], v[153:154], v[102:103]
	v_mul_f64 v[102:103], v[151:152], v[102:103]
	;; [unrolled: 3-line block ×6, first 2 shown]
	v_fma_f64 v[147:148], v[147:148], v[96:97], -v[171:172]
	v_fma_f64 v[149:150], v[149:150], v[96:97], v[98:99]
	v_fma_f64 v[96:97], v[151:152], v[100:101], -v[173:174]
	v_fma_f64 v[98:99], v[153:154], v[100:101], v[102:103]
	;; [unrolled: 2-line block ×6, first 2 shown]
	ds_write_b128 v121, v[147:150]
	ds_write_b128 v121, v[96:99] offset:12544
	ds_write_b128 v121, v[100:103] offset:3584
	;; [unrolled: 1-line block ×5, first 2 shown]
	s_and_saveexec_b32 s1, vcc_lo
	s_cbranch_execz .LBB0_25
; %bb.24:
	v_add_co_u32 v98, s0, 0x6200, v122
	v_add_co_ci_u32_e64 v99, s0, 0, v123, s0
	v_add_co_u32 v96, s0, 0x2800, v98
	v_add_co_ci_u32_e64 v97, s0, 0, v99, s0
	;; [unrolled: 2-line block ×3, first 2 shown]
	s_clause 0x1
	global_load_dwordx4 v[96:99], v[96:97], off offset:512
	global_load_dwordx4 v[100:103], v[100:101], off offset:768
	ds_read_b128 v[104:107], v121 offset:10752
	ds_read_b128 v[108:111], v121 offset:23296
	s_waitcnt vmcnt(1) lgkmcnt(1)
	v_mul_f64 v[112:113], v[106:107], v[98:99]
	v_mul_f64 v[98:99], v[104:105], v[98:99]
	s_waitcnt vmcnt(0) lgkmcnt(0)
	v_mul_f64 v[114:115], v[110:111], v[102:103]
	v_mul_f64 v[116:117], v[108:109], v[102:103]
	v_fma_f64 v[102:103], v[104:105], v[96:97], -v[112:113]
	v_fma_f64 v[104:105], v[106:107], v[96:97], v[98:99]
	v_fma_f64 v[96:97], v[108:109], v[100:101], -v[114:115]
	v_fma_f64 v[98:99], v[110:111], v[100:101], v[116:117]
	ds_write_b128 v121, v[102:105] offset:10752
	ds_write_b128 v121, v[96:99] offset:23296
.LBB0_25:
	s_or_b32 exec_lo, exec_lo, s1
	s_waitcnt lgkmcnt(0)
	s_barrier
	buffer_gl0_inv
	ds_read_b128 v[100:103], v121
	ds_read_b128 v[104:107], v121 offset:3584
	ds_read_b128 v[116:119], v121 offset:12544
	;; [unrolled: 1-line block ×5, first 2 shown]
	s_and_saveexec_b32 s0, vcc_lo
	s_cbranch_execz .LBB0_27
; %bb.26:
	ds_read_b128 v[92:95], v121 offset:10752
	ds_read_b128 v[88:91], v121 offset:23296
.LBB0_27:
	s_or_b32 exec_lo, exec_lo, s0
	s_waitcnt lgkmcnt(0)
	v_add_f64 v[147:148], v[108:109], -v[96:97]
	v_add_f64 v[149:150], v[110:111], -v[98:99]
	;; [unrolled: 1-line block ×8, first 2 shown]
	s_barrier
	buffer_gl0_inv
	v_fma_f64 v[108:109], v[108:109], 2.0, -v[147:148]
	v_fma_f64 v[110:111], v[110:111], 2.0, -v[149:150]
	;; [unrolled: 1-line block ×8, first 2 shown]
	ds_write_b128 v132, v[116:119] offset:16
	ds_write_b128 v132, v[100:103]
	ds_write_b128 v133, v[104:107]
	ds_write_b128 v133, v[112:115] offset:16
	ds_write_b128 v131, v[108:111]
	ds_write_b128 v131, v[147:150] offset:16
	s_and_saveexec_b32 s0, vcc_lo
	s_cbranch_execz .LBB0_29
; %bb.28:
	ds_write_b128 v130, v[88:91]
	ds_write_b128 v130, v[96:99] offset:16
.LBB0_29:
	s_or_b32 exec_lo, exec_lo, s0
	s_waitcnt lgkmcnt(0)
	s_barrier
	buffer_gl0_inv
	ds_read_b128 v[100:103], v121
	ds_read_b128 v[104:107], v121 offset:3584
	ds_read_b128 v[92:95], v121 offset:12544
	;; [unrolled: 1-line block ×5, first 2 shown]
	s_and_saveexec_b32 s0, vcc_lo
	s_cbranch_execz .LBB0_31
; %bb.30:
	ds_read_b128 v[88:91], v121 offset:10752
	ds_read_b128 v[96:99], v121 offset:23296
.LBB0_31:
	s_or_b32 exec_lo, exec_lo, s0
	s_waitcnt lgkmcnt(3)
	v_mul_f64 v[130:131], v[30:31], v[94:95]
	v_mul_f64 v[132:133], v[30:31], v[92:93]
	s_waitcnt lgkmcnt(1)
	v_mul_f64 v[147:148], v[30:31], v[118:119]
	v_mul_f64 v[149:150], v[30:31], v[116:117]
	;; [unrolled: 3-line block ×3, first 2 shown]
	v_mul_f64 v[155:156], v[30:31], v[98:99]
	v_mul_f64 v[30:31], v[30:31], v[96:97]
	s_barrier
	buffer_gl0_inv
	v_fma_f64 v[92:93], v[28:29], v[92:93], v[130:131]
	v_fma_f64 v[94:95], v[28:29], v[94:95], -v[132:133]
	v_fma_f64 v[116:117], v[28:29], v[116:117], v[147:148]
	v_fma_f64 v[118:119], v[28:29], v[118:119], -v[149:150]
	;; [unrolled: 2-line block ×4, first 2 shown]
	v_add_f64 v[96:97], v[100:101], -v[92:93]
	v_add_f64 v[98:99], v[102:103], -v[94:95]
	;; [unrolled: 1-line block ×8, first 2 shown]
	v_fma_f64 v[100:101], v[100:101], 2.0, -v[96:97]
	v_fma_f64 v[102:103], v[102:103], 2.0, -v[98:99]
	;; [unrolled: 1-line block ×8, first 2 shown]
	ds_write_b128 v136, v[96:99] offset:32
	ds_write_b128 v136, v[100:103]
	ds_write_b128 v135, v[104:107]
	ds_write_b128 v135, v[112:115] offset:32
	ds_write_b128 v134, v[108:111]
	ds_write_b128 v134, v[116:119] offset:32
	s_and_saveexec_b32 s0, vcc_lo
	s_cbranch_execz .LBB0_33
; %bb.32:
	v_and_or_b32 v88, 0x7fc, v125, v126
	v_lshlrev_b32_e32 v88, 4, v88
	ds_write_b128 v88, v[28:31]
	ds_write_b128 v88, v[92:95] offset:32
.LBB0_33:
	s_or_b32 exec_lo, exec_lo, s0
	s_waitcnt lgkmcnt(0)
	s_barrier
	buffer_gl0_inv
	ds_read_b128 v[88:91], v121
	ds_read_b128 v[96:99], v121 offset:3584
	ds_read_b128 v[104:107], v121 offset:12544
	;; [unrolled: 1-line block ×5, first 2 shown]
	s_and_saveexec_b32 s0, vcc_lo
	s_cbranch_execz .LBB0_35
; %bb.34:
	ds_read_b128 v[28:31], v121 offset:10752
	ds_read_b128 v[92:95], v121 offset:23296
.LBB0_35:
	s_or_b32 exec_lo, exec_lo, s0
	s_waitcnt lgkmcnt(3)
	v_mul_f64 v[116:117], v[34:35], v[106:107]
	v_mul_f64 v[118:119], v[34:35], v[104:105]
	s_waitcnt lgkmcnt(1)
	v_mul_f64 v[130:131], v[34:35], v[114:115]
	v_mul_f64 v[132:133], v[34:35], v[112:113]
	;; [unrolled: 3-line block ×3, first 2 shown]
	v_mul_f64 v[149:150], v[34:35], v[94:95]
	v_mul_f64 v[34:35], v[34:35], v[92:93]
	s_barrier
	buffer_gl0_inv
	v_fma_f64 v[104:105], v[32:33], v[104:105], v[116:117]
	v_fma_f64 v[106:107], v[32:33], v[106:107], -v[118:119]
	v_fma_f64 v[112:113], v[32:33], v[112:113], v[130:131]
	v_fma_f64 v[114:115], v[32:33], v[114:115], -v[132:133]
	;; [unrolled: 2-line block ×4, first 2 shown]
	v_add_f64 v[92:93], v[88:89], -v[104:105]
	v_add_f64 v[94:95], v[90:91], -v[106:107]
	;; [unrolled: 1-line block ×8, first 2 shown]
	v_fma_f64 v[88:89], v[88:89], 2.0, -v[92:93]
	v_fma_f64 v[90:91], v[90:91], 2.0, -v[94:95]
	;; [unrolled: 1-line block ×8, first 2 shown]
	ds_write_b128 v139, v[92:95] offset:64
	ds_write_b128 v139, v[88:91]
	ds_write_b128 v138, v[96:99]
	ds_write_b128 v138, v[104:107] offset:64
	ds_write_b128 v137, v[100:103]
	ds_write_b128 v137, v[108:111] offset:64
	s_and_saveexec_b32 s0, vcc_lo
	s_cbranch_execz .LBB0_37
; %bb.36:
	v_and_or_b32 v88, 0x7f8, v125, v127
	v_lshlrev_b32_e32 v88, 4, v88
	ds_write_b128 v88, v[28:31]
	ds_write_b128 v88, v[32:35] offset:64
.LBB0_37:
	s_or_b32 exec_lo, exec_lo, s0
	s_waitcnt lgkmcnt(0)
	s_barrier
	buffer_gl0_inv
	ds_read_b128 v[88:91], v121
	ds_read_b128 v[92:95], v121 offset:3584
	ds_read_b128 v[100:103], v121 offset:12544
	;; [unrolled: 1-line block ×5, first 2 shown]
	s_and_saveexec_b32 s0, vcc_lo
	s_cbranch_execz .LBB0_39
; %bb.38:
	ds_read_b128 v[28:31], v121 offset:10752
	ds_read_b128 v[32:35], v121 offset:23296
.LBB0_39:
	s_or_b32 exec_lo, exec_lo, s0
	s_waitcnt lgkmcnt(3)
	v_mul_f64 v[112:113], v[38:39], v[102:103]
	v_mul_f64 v[114:115], v[38:39], v[100:101]
	s_waitcnt lgkmcnt(1)
	v_mul_f64 v[116:117], v[38:39], v[110:111]
	v_mul_f64 v[118:119], v[38:39], v[108:109]
	;; [unrolled: 3-line block ×3, first 2 shown]
	v_mul_f64 v[132:133], v[38:39], v[34:35]
	v_mul_f64 v[38:39], v[38:39], v[32:33]
	s_barrier
	buffer_gl0_inv
	v_fma_f64 v[100:101], v[36:37], v[100:101], v[112:113]
	v_fma_f64 v[102:103], v[36:37], v[102:103], -v[114:115]
	v_fma_f64 v[108:109], v[36:37], v[108:109], v[116:117]
	v_fma_f64 v[110:111], v[36:37], v[110:111], -v[118:119]
	;; [unrolled: 2-line block ×4, first 2 shown]
	v_add_f64 v[36:37], v[88:89], -v[100:101]
	v_add_f64 v[38:39], v[90:91], -v[102:103]
	;; [unrolled: 1-line block ×8, first 2 shown]
	v_fma_f64 v[88:89], v[88:89], 2.0, -v[36:37]
	v_fma_f64 v[90:91], v[90:91], 2.0, -v[38:39]
	;; [unrolled: 1-line block ×8, first 2 shown]
	ds_write_b128 v142, v[36:39] offset:128
	ds_write_b128 v142, v[88:91]
	ds_write_b128 v141, v[92:95]
	ds_write_b128 v141, v[100:103] offset:128
	ds_write_b128 v140, v[96:99]
	ds_write_b128 v140, v[104:107] offset:128
	s_and_saveexec_b32 s0, vcc_lo
	s_cbranch_execz .LBB0_41
; %bb.40:
	v_and_or_b32 v36, 0x7f0, v125, v128
	v_lshlrev_b32_e32 v36, 4, v36
	ds_write_b128 v36, v[28:31]
	ds_write_b128 v36, v[32:35] offset:128
.LBB0_41:
	s_or_b32 exec_lo, exec_lo, s0
	s_waitcnt lgkmcnt(0)
	s_barrier
	buffer_gl0_inv
	ds_read_b128 v[88:91], v121
	ds_read_b128 v[92:95], v121 offset:3584
	ds_read_b128 v[96:99], v121 offset:12544
	;; [unrolled: 1-line block ×5, first 2 shown]
	s_and_saveexec_b32 s0, vcc_lo
	s_cbranch_execz .LBB0_43
; %bb.42:
	ds_read_b128 v[28:31], v121 offset:10752
	ds_read_b128 v[32:35], v121 offset:23296
.LBB0_43:
	s_or_b32 exec_lo, exec_lo, s0
	s_waitcnt lgkmcnt(3)
	v_mul_f64 v[108:109], v[26:27], v[98:99]
	v_mul_f64 v[110:111], v[26:27], v[96:97]
	s_waitcnt lgkmcnt(1)
	v_mul_f64 v[112:113], v[26:27], v[106:107]
	v_mul_f64 v[114:115], v[26:27], v[104:105]
	;; [unrolled: 3-line block ×3, first 2 shown]
	s_barrier
	buffer_gl0_inv
	v_fma_f64 v[96:97], v[24:25], v[96:97], v[108:109]
	v_fma_f64 v[98:99], v[24:25], v[98:99], -v[110:111]
	v_fma_f64 v[104:105], v[24:25], v[104:105], v[112:113]
	v_fma_f64 v[106:107], v[24:25], v[106:107], -v[114:115]
	;; [unrolled: 2-line block ×3, first 2 shown]
	v_add_f64 v[96:97], v[88:89], -v[96:97]
	v_add_f64 v[98:99], v[90:91], -v[98:99]
	;; [unrolled: 1-line block ×6, first 2 shown]
	v_fma_f64 v[88:89], v[88:89], 2.0, -v[96:97]
	v_fma_f64 v[90:91], v[90:91], 2.0, -v[98:99]
	;; [unrolled: 1-line block ×6, first 2 shown]
	ds_write_b128 v145, v[96:99] offset:256
	ds_write_b128 v145, v[88:91]
	ds_write_b128 v144, v[92:95]
	ds_write_b128 v144, v[100:103] offset:256
	ds_write_b128 v143, v[36:39]
	ds_write_b128 v143, v[104:107] offset:256
	s_and_saveexec_b32 s0, vcc_lo
	s_cbranch_execz .LBB0_45
; %bb.44:
	v_mul_f64 v[36:37], v[26:27], v[32:33]
	v_mul_f64 v[26:27], v[26:27], v[34:35]
	v_fma_f64 v[34:35], v[24:25], v[34:35], -v[36:37]
	v_fma_f64 v[24:25], v[24:25], v[32:33], v[26:27]
	v_and_or_b32 v32, 0x7e0, v125, v129
	v_lshlrev_b32_e32 v32, 4, v32
	v_add_f64 v[26:27], v[30:31], -v[34:35]
	v_add_f64 v[24:25], v[28:29], -v[24:25]
	v_fma_f64 v[30:31], v[30:31], 2.0, -v[26:27]
	v_fma_f64 v[28:29], v[28:29], 2.0, -v[24:25]
	ds_write_b128 v32, v[28:31]
	ds_write_b128 v32, v[24:27] offset:256
.LBB0_45:
	s_or_b32 exec_lo, exec_lo, s0
	s_waitcnt lgkmcnt(0)
	s_barrier
	buffer_gl0_inv
	ds_read_b128 v[24:27], v121 offset:3584
	ds_read_b128 v[28:31], v121 offset:7168
	;; [unrolled: 1-line block ×6, first 2 shown]
	s_mov_b32 s2, 0x37e14327
	s_mov_b32 s14, 0xe976ee23
	;; [unrolled: 1-line block ×14, first 2 shown]
	s_waitcnt lgkmcnt(5)
	v_mul_f64 v[96:97], v[46:47], v[26:27]
	v_mul_f64 v[46:47], v[46:47], v[24:25]
	s_waitcnt lgkmcnt(4)
	v_mul_f64 v[98:99], v[42:43], v[30:31]
	v_mul_f64 v[42:43], v[42:43], v[28:29]
	;; [unrolled: 3-line block ×6, first 2 shown]
	s_mov_b32 s19, 0xbfe77f67
	s_mov_b32 s23, 0x3fd5d0dc
	;; [unrolled: 1-line block ×6, first 2 shown]
	v_fma_f64 v[24:25], v[44:45], v[24:25], v[96:97]
	v_fma_f64 v[26:27], v[44:45], v[26:27], -v[46:47]
	v_fma_f64 v[28:29], v[40:41], v[28:29], v[98:99]
	v_fma_f64 v[30:31], v[40:41], v[30:31], -v[42:43]
	v_fma_f64 v[32:33], v[48:49], v[32:33], v[100:101]
	v_fma_f64 v[34:35], v[48:49], v[34:35], -v[50:51]
	v_fma_f64 v[36:37], v[60:61], v[36:37], v[102:103]
	v_fma_f64 v[38:39], v[60:61], v[38:39], -v[62:63]
	v_fma_f64 v[40:41], v[56:57], v[88:89], v[104:105]
	v_fma_f64 v[42:43], v[56:57], v[90:91], -v[58:59]
	v_fma_f64 v[44:45], v[52:53], v[92:93], v[106:107]
	v_fma_f64 v[46:47], v[52:53], v[94:95], -v[54:55]
	v_add_f64 v[48:49], v[24:25], v[32:33]
	v_add_f64 v[50:51], v[26:27], v[34:35]
	;; [unrolled: 1-line block ×4, first 2 shown]
	v_add_f64 v[28:29], v[28:29], -v[36:37]
	v_add_f64 v[30:31], v[30:31], -v[38:39]
	v_add_f64 v[36:37], v[40:41], v[44:45]
	v_add_f64 v[38:39], v[42:43], v[46:47]
	v_add_f64 v[40:41], v[44:45], -v[40:41]
	v_add_f64 v[42:43], v[46:47], -v[42:43]
	;; [unrolled: 1-line block ×4, first 2 shown]
	ds_read_b128 v[24:27], v121
	s_waitcnt lgkmcnt(0)
	s_barrier
	buffer_gl0_inv
	v_add_f64 v[44:45], v[52:53], v[48:49]
	v_add_f64 v[46:47], v[54:55], v[50:51]
	v_add_f64 v[56:57], v[48:49], -v[36:37]
	v_add_f64 v[58:59], v[50:51], -v[38:39]
	;; [unrolled: 1-line block ×6, first 2 shown]
	v_add_f64 v[28:29], v[40:41], v[28:29]
	v_add_f64 v[30:31], v[42:43], v[30:31]
	v_add_f64 v[40:41], v[32:33], -v[40:41]
	v_add_f64 v[42:43], v[34:35], -v[42:43]
	;; [unrolled: 1-line block ×4, first 2 shown]
	v_add_f64 v[44:45], v[36:37], v[44:45]
	v_add_f64 v[46:47], v[38:39], v[46:47]
	v_add_f64 v[36:37], v[36:37], -v[52:53]
	v_add_f64 v[38:39], v[38:39], -v[54:55]
	v_mul_f64 v[56:57], v[56:57], s[2:3]
	v_mul_f64 v[58:59], v[58:59], s[2:3]
	;; [unrolled: 1-line block ×6, first 2 shown]
	v_add_f64 v[28:29], v[28:29], v[32:33]
	v_add_f64 v[30:31], v[30:31], v[34:35]
	;; [unrolled: 1-line block ×4, first 2 shown]
	v_mul_f64 v[52:53], v[36:37], s[0:1]
	v_mul_f64 v[54:55], v[38:39], s[0:1]
	v_fma_f64 v[32:33], v[36:37], s[0:1], v[56:57]
	v_fma_f64 v[34:35], v[38:39], s[0:1], v[58:59]
	;; [unrolled: 1-line block ×4, first 2 shown]
	v_fma_f64 v[40:41], v[40:41], s[22:23], -v[92:93]
	v_fma_f64 v[42:43], v[42:43], s[22:23], -v[94:95]
	v_fma_f64 v[56:57], v[48:49], s[18:19], -v[56:57]
	v_fma_f64 v[58:59], v[50:51], s[18:19], -v[58:59]
	v_fma_f64 v[60:61], v[88:89], s[4:5], -v[60:61]
	v_fma_f64 v[62:63], v[90:91], s[4:5], -v[62:63]
	v_fma_f64 v[44:45], v[44:45], s[12:13], v[24:25]
	v_fma_f64 v[46:47], v[46:47], s[12:13], v[26:27]
	v_fma_f64 v[48:49], v[48:49], s[16:17], -v[52:53]
	v_fma_f64 v[50:51], v[50:51], s[16:17], -v[54:55]
	v_fma_f64 v[52:53], v[28:29], s[24:25], v[36:37]
	v_fma_f64 v[54:55], v[30:31], s[24:25], v[38:39]
	;; [unrolled: 1-line block ×6, first 2 shown]
	v_add_f64 v[92:93], v[32:33], v[44:45]
	v_add_f64 v[94:95], v[34:35], v[46:47]
	;; [unrolled: 1-line block ×7, first 2 shown]
	v_add_f64 v[30:31], v[94:95], -v[52:53]
	v_add_f64 v[32:33], v[90:91], v[56:57]
	v_add_f64 v[34:35], v[58:59], -v[88:89]
	v_add_f64 v[36:37], v[40:41], -v[62:63]
	v_add_f64 v[38:39], v[60:61], v[42:43]
	v_add_f64 v[40:41], v[62:63], v[40:41]
	v_add_f64 v[42:43], v[42:43], -v[60:61]
	v_add_f64 v[44:45], v[56:57], -v[90:91]
	v_add_f64 v[46:47], v[88:89], v[58:59]
	v_add_f64 v[48:49], v[92:93], -v[54:55]
	v_add_f64 v[50:51], v[52:53], v[94:95]
	ds_write_b128 v146, v[24:27]
	ds_write_b128 v146, v[28:31] offset:512
	ds_write_b128 v146, v[32:35] offset:1024
	;; [unrolled: 1-line block ×6, first 2 shown]
	s_waitcnt lgkmcnt(0)
	s_barrier
	buffer_gl0_inv
	ds_read_b128 v[24:27], v121 offset:3584
	ds_read_b128 v[28:31], v121 offset:7168
	;; [unrolled: 1-line block ×6, first 2 shown]
	s_waitcnt lgkmcnt(5)
	v_mul_f64 v[48:49], v[70:71], v[26:27]
	v_mul_f64 v[50:51], v[70:71], v[24:25]
	s_waitcnt lgkmcnt(4)
	v_mul_f64 v[52:53], v[66:67], v[30:31]
	v_mul_f64 v[54:55], v[66:67], v[28:29]
	;; [unrolled: 3-line block ×6, first 2 shown]
	v_fma_f64 v[24:25], v[68:69], v[24:25], v[48:49]
	v_fma_f64 v[26:27], v[68:69], v[26:27], -v[50:51]
	v_fma_f64 v[28:29], v[64:65], v[28:29], v[52:53]
	v_fma_f64 v[30:31], v[64:65], v[30:31], -v[54:55]
	;; [unrolled: 2-line block ×6, first 2 shown]
	v_add_f64 v[48:49], v[24:25], v[32:33]
	v_add_f64 v[50:51], v[26:27], v[34:35]
	;; [unrolled: 1-line block ×4, first 2 shown]
	v_add_f64 v[28:29], v[28:29], -v[36:37]
	v_add_f64 v[30:31], v[30:31], -v[38:39]
	v_add_f64 v[36:37], v[40:41], v[44:45]
	v_add_f64 v[38:39], v[42:43], v[46:47]
	v_add_f64 v[40:41], v[44:45], -v[40:41]
	v_add_f64 v[42:43], v[46:47], -v[42:43]
	;; [unrolled: 1-line block ×4, first 2 shown]
	v_add_f64 v[24:25], v[52:53], v[48:49]
	v_add_f64 v[26:27], v[54:55], v[50:51]
	v_add_f64 v[44:45], v[48:49], -v[36:37]
	v_add_f64 v[46:47], v[50:51], -v[38:39]
	;; [unrolled: 1-line block ×6, first 2 shown]
	v_add_f64 v[28:29], v[40:41], v[28:29]
	v_add_f64 v[30:31], v[42:43], v[30:31]
	v_add_f64 v[40:41], v[32:33], -v[40:41]
	v_add_f64 v[42:43], v[34:35], -v[42:43]
	;; [unrolled: 1-line block ×4, first 2 shown]
	v_add_f64 v[64:65], v[36:37], v[24:25]
	v_add_f64 v[66:67], v[38:39], v[26:27]
	ds_read_b128 v[24:27], v121
	v_add_f64 v[36:37], v[36:37], -v[52:53]
	v_add_f64 v[38:39], v[38:39], -v[54:55]
	v_mul_f64 v[44:45], v[44:45], s[2:3]
	v_mul_f64 v[46:47], v[46:47], s[2:3]
	;; [unrolled: 1-line block ×6, first 2 shown]
	v_add_f64 v[28:29], v[28:29], v[32:33]
	v_add_f64 v[30:31], v[30:31], v[34:35]
	s_mov_b32 s2, 0xa72f0539
	s_mov_b32 s3, 0x3f44e5e0
	s_waitcnt lgkmcnt(0)
	v_add_f64 v[24:25], v[24:25], v[64:65]
	v_add_f64 v[26:27], v[26:27], v[66:67]
	v_mul_f64 v[52:53], v[36:37], s[0:1]
	v_mul_f64 v[54:55], v[38:39], s[0:1]
	v_fma_f64 v[32:33], v[36:37], s[0:1], v[44:45]
	v_fma_f64 v[34:35], v[38:39], s[0:1], v[46:47]
	;; [unrolled: 1-line block ×4, first 2 shown]
	v_fma_f64 v[56:57], v[60:61], s[4:5], -v[56:57]
	v_fma_f64 v[58:59], v[62:63], s[4:5], -v[58:59]
	;; [unrolled: 1-line block ×6, first 2 shown]
	s_mul_i32 s1, s9, 0x310
	s_mul_hi_u32 s4, s8, 0x310
	s_mul_i32 s0, s8, 0x310
	s_mul_hi_u32 s5, s8, 0xfffffdd0
	s_add_i32 s1, s4, s1
	v_fma_f64 v[60:61], v[64:65], s[12:13], v[24:25]
	v_fma_f64 v[62:63], v[66:67], s[12:13], v[26:27]
	v_fma_f64 v[48:49], v[48:49], s[16:17], -v[52:53]
	v_fma_f64 v[50:51], v[50:51], s[16:17], -v[54:55]
	v_fma_f64 v[52:53], v[28:29], s[24:25], v[36:37]
	v_fma_f64 v[54:55], v[30:31], s[24:25], v[38:39]
	;; [unrolled: 1-line block ×6, first 2 shown]
	v_add_f64 v[68:69], v[32:33], v[60:61]
	v_add_f64 v[70:71], v[34:35], v[62:63]
	;; [unrolled: 1-line block ×7, first 2 shown]
	v_add_f64 v[30:31], v[70:71], -v[52:53]
	v_add_f64 v[32:33], v[66:67], v[44:45]
	v_add_f64 v[34:35], v[46:47], -v[64:65]
	v_add_f64 v[36:37], v[40:41], -v[58:59]
	v_add_f64 v[38:39], v[56:57], v[42:43]
	v_add_f64 v[40:41], v[58:59], v[40:41]
	v_add_f64 v[42:43], v[42:43], -v[56:57]
	v_add_f64 v[44:45], v[44:45], -v[66:67]
	v_add_f64 v[46:47], v[64:65], v[46:47]
	v_add_f64 v[48:49], v[68:69], -v[54:55]
	v_add_f64 v[50:51], v[52:53], v[70:71]
	v_mad_u64_u32 v[52:53], null, s10, v120, 0
	ds_write_b128 v121, v[24:27]
	ds_write_b128 v121, v[28:31] offset:3584
	ds_write_b128 v121, v[32:35] offset:7168
	;; [unrolled: 1-line block ×6, first 2 shown]
	s_waitcnt lgkmcnt(0)
	s_barrier
	buffer_gl0_inv
	ds_read_b128 v[24:27], v121
	ds_read_b128 v[32:35], v121 offset:3584
	ds_read_b128 v[28:31], v121 offset:12544
	ds_read_b128 v[36:39], v121 offset:16128
	ds_read_b128 v[40:43], v121 offset:7168
	ds_read_b128 v[44:47], v121 offset:19712
	v_mov_b32_e32 v50, v53
	v_mad_u64_u32 v[48:49], null, s8, v124, 0
	s_mul_i32 s10, s8, 0xfffffdd0
	s_sub_i32 s8, s5, s8
	v_mad_u64_u32 v[50:51], null, s11, v120, v[50:51]
	s_lshl_b64 s[4:5], s[0:1], 4
	s_mul_i32 s11, s9, 0xfffffdd0
	s_add_i32 s11, s8, s11
	v_mad_u64_u32 v[54:55], null, s9, v124, v[49:50]
	v_mov_b32_e32 v53, v50
	s_waitcnt lgkmcnt(5)
	v_mul_f64 v[50:51], v[2:3], v[26:27]
	v_mul_f64 v[2:3], v[2:3], v[24:25]
	s_waitcnt lgkmcnt(3)
	v_mul_f64 v[55:56], v[6:7], v[30:31]
	v_mul_f64 v[6:7], v[6:7], v[28:29]
	;; [unrolled: 1-line block ×4, first 2 shown]
	s_waitcnt lgkmcnt(2)
	v_mul_f64 v[59:60], v[14:15], v[38:39]
	v_mul_f64 v[14:15], v[14:15], v[36:37]
	s_waitcnt lgkmcnt(1)
	v_mul_f64 v[61:62], v[18:19], v[42:43]
	v_mul_f64 v[18:19], v[18:19], v[40:41]
	;; [unrolled: 3-line block ×3, first 2 shown]
	v_mov_b32_e32 v49, v54
	v_lshlrev_b64 v[52:53], 4, v[52:53]
	v_lshlrev_b64 v[48:49], 4, v[48:49]
	v_add_co_u32 v52, s0, s6, v52
	v_add_co_ci_u32_e64 v53, s0, s7, v53, s0
	v_fma_f64 v[24:25], v[0:1], v[24:25], v[50:51]
	v_fma_f64 v[0:1], v[0:1], v[26:27], -v[2:3]
	v_fma_f64 v[26:27], v[4:5], v[28:29], v[55:56]
	v_fma_f64 v[28:29], v[4:5], v[30:31], -v[6:7]
	;; [unrolled: 2-line block ×6, first 2 shown]
	v_add_co_u32 v46, s0, v52, v48
	v_add_co_ci_u32_e64 v47, s0, v53, v49, s0
	s_lshl_b64 s[6:7], s[10:11], 4
	v_add_co_u32 v48, s0, v46, s4
	v_add_co_ci_u32_e64 v49, s0, s5, v47, s0
	v_mul_f64 v[2:3], v[24:25], s[2:3]
	v_mul_f64 v[4:5], v[0:1], s[2:3]
	v_mul_f64 v[6:7], v[26:27], s[2:3]
	v_add_co_u32 v26, s0, v48, s6
	v_mul_f64 v[8:9], v[28:29], s[2:3]
	v_mul_f64 v[10:11], v[30:31], s[2:3]
	;; [unrolled: 1-line block ×3, first 2 shown]
	v_add_co_ci_u32_e64 v27, s0, s7, v49, s0
	v_mul_f64 v[14:15], v[34:35], s[2:3]
	v_mul_f64 v[16:17], v[36:37], s[2:3]
	;; [unrolled: 1-line block ×6, first 2 shown]
	v_add_co_u32 v28, s0, v26, s4
	v_add_co_ci_u32_e64 v29, s0, s5, v27, s0
	v_add_co_u32 v30, s0, v28, s6
	v_add_co_ci_u32_e64 v31, s0, s7, v29, s0
	;; [unrolled: 2-line block ×3, first 2 shown]
	global_store_dwordx4 v[46:47], v[2:5], off
	global_store_dwordx4 v[48:49], v[6:9], off
	;; [unrolled: 1-line block ×6, first 2 shown]
	s_and_b32 exec_lo, exec_lo, vcc_lo
	s_cbranch_execz .LBB0_47
; %bb.46:
	v_add_co_u32 v2, vcc_lo, 0x2800, v122
	v_add_co_ci_u32_e32 v3, vcc_lo, 0, v123, vcc_lo
	v_add_co_u32 v6, vcc_lo, 0x5800, v122
	v_add_co_ci_u32_e32 v7, vcc_lo, 0, v123, vcc_lo
	v_add_co_u32 v0, vcc_lo, v0, s6
	s_clause 0x1
	global_load_dwordx4 v[2:5], v[2:3], off offset:512
	global_load_dwordx4 v[6:9], v[6:7], off offset:768
	ds_read_b128 v[10:13], v121 offset:10752
	ds_read_b128 v[14:17], v121 offset:23296
	v_add_co_ci_u32_e32 v1, vcc_lo, s7, v1, vcc_lo
	s_waitcnt vmcnt(1) lgkmcnt(1)
	v_mul_f64 v[18:19], v[12:13], v[4:5]
	v_mul_f64 v[4:5], v[10:11], v[4:5]
	s_waitcnt vmcnt(0) lgkmcnt(0)
	v_mul_f64 v[20:21], v[16:17], v[8:9]
	v_mul_f64 v[8:9], v[14:15], v[8:9]
	v_fma_f64 v[10:11], v[10:11], v[2:3], v[18:19]
	v_fma_f64 v[4:5], v[2:3], v[12:13], -v[4:5]
	v_fma_f64 v[12:13], v[14:15], v[6:7], v[20:21]
	v_fma_f64 v[8:9], v[6:7], v[16:17], -v[8:9]
	v_mul_f64 v[2:3], v[10:11], s[2:3]
	v_mul_f64 v[4:5], v[4:5], s[2:3]
	;; [unrolled: 1-line block ×4, first 2 shown]
	v_add_co_u32 v10, vcc_lo, v0, s4
	v_add_co_ci_u32_e32 v11, vcc_lo, s5, v1, vcc_lo
	global_store_dwordx4 v[0:1], v[2:5], off
	global_store_dwordx4 v[10:11], v[6:9], off
.LBB0_47:
	s_endpgm
	.section	.rodata,"a",@progbits
	.p2align	6, 0x0
	.amdhsa_kernel bluestein_single_back_len1568_dim1_dp_op_CI_CI
		.amdhsa_group_segment_fixed_size 25088
		.amdhsa_private_segment_fixed_size 0
		.amdhsa_kernarg_size 104
		.amdhsa_user_sgpr_count 6
		.amdhsa_user_sgpr_private_segment_buffer 1
		.amdhsa_user_sgpr_dispatch_ptr 0
		.amdhsa_user_sgpr_queue_ptr 0
		.amdhsa_user_sgpr_kernarg_segment_ptr 1
		.amdhsa_user_sgpr_dispatch_id 0
		.amdhsa_user_sgpr_flat_scratch_init 0
		.amdhsa_user_sgpr_private_segment_size 0
		.amdhsa_wavefront_size32 1
		.amdhsa_uses_dynamic_stack 0
		.amdhsa_system_sgpr_private_segment_wavefront_offset 0
		.amdhsa_system_sgpr_workgroup_id_x 1
		.amdhsa_system_sgpr_workgroup_id_y 0
		.amdhsa_system_sgpr_workgroup_id_z 0
		.amdhsa_system_sgpr_workgroup_info 0
		.amdhsa_system_vgpr_workitem_id 0
		.amdhsa_next_free_vgpr 183
		.amdhsa_next_free_sgpr 28
		.amdhsa_reserve_vcc 1
		.amdhsa_reserve_flat_scratch 0
		.amdhsa_float_round_mode_32 0
		.amdhsa_float_round_mode_16_64 0
		.amdhsa_float_denorm_mode_32 3
		.amdhsa_float_denorm_mode_16_64 3
		.amdhsa_dx10_clamp 1
		.amdhsa_ieee_mode 1
		.amdhsa_fp16_overflow 0
		.amdhsa_workgroup_processor_mode 1
		.amdhsa_memory_ordered 1
		.amdhsa_forward_progress 0
		.amdhsa_shared_vgpr_count 0
		.amdhsa_exception_fp_ieee_invalid_op 0
		.amdhsa_exception_fp_denorm_src 0
		.amdhsa_exception_fp_ieee_div_zero 0
		.amdhsa_exception_fp_ieee_overflow 0
		.amdhsa_exception_fp_ieee_underflow 0
		.amdhsa_exception_fp_ieee_inexact 0
		.amdhsa_exception_int_div_zero 0
	.end_amdhsa_kernel
	.text
.Lfunc_end0:
	.size	bluestein_single_back_len1568_dim1_dp_op_CI_CI, .Lfunc_end0-bluestein_single_back_len1568_dim1_dp_op_CI_CI
                                        ; -- End function
	.section	.AMDGPU.csdata,"",@progbits
; Kernel info:
; codeLenInByte = 11736
; NumSgprs: 30
; NumVgprs: 183
; ScratchSize: 0
; MemoryBound: 0
; FloatMode: 240
; IeeeMode: 1
; LDSByteSize: 25088 bytes/workgroup (compile time only)
; SGPRBlocks: 3
; VGPRBlocks: 22
; NumSGPRsForWavesPerEU: 30
; NumVGPRsForWavesPerEU: 183
; Occupancy: 5
; WaveLimiterHint : 1
; COMPUTE_PGM_RSRC2:SCRATCH_EN: 0
; COMPUTE_PGM_RSRC2:USER_SGPR: 6
; COMPUTE_PGM_RSRC2:TRAP_HANDLER: 0
; COMPUTE_PGM_RSRC2:TGID_X_EN: 1
; COMPUTE_PGM_RSRC2:TGID_Y_EN: 0
; COMPUTE_PGM_RSRC2:TGID_Z_EN: 0
; COMPUTE_PGM_RSRC2:TIDIG_COMP_CNT: 0
	.text
	.p2alignl 6, 3214868480
	.fill 48, 4, 3214868480
	.type	__hip_cuid_ce4cab079ed212ee,@object ; @__hip_cuid_ce4cab079ed212ee
	.section	.bss,"aw",@nobits
	.globl	__hip_cuid_ce4cab079ed212ee
__hip_cuid_ce4cab079ed212ee:
	.byte	0                               ; 0x0
	.size	__hip_cuid_ce4cab079ed212ee, 1

	.ident	"AMD clang version 19.0.0git (https://github.com/RadeonOpenCompute/llvm-project roc-6.4.0 25133 c7fe45cf4b819c5991fe208aaa96edf142730f1d)"
	.section	".note.GNU-stack","",@progbits
	.addrsig
	.addrsig_sym __hip_cuid_ce4cab079ed212ee
	.amdgpu_metadata
---
amdhsa.kernels:
  - .args:
      - .actual_access:  read_only
        .address_space:  global
        .offset:         0
        .size:           8
        .value_kind:     global_buffer
      - .actual_access:  read_only
        .address_space:  global
        .offset:         8
        .size:           8
        .value_kind:     global_buffer
      - .actual_access:  read_only
        .address_space:  global
        .offset:         16
        .size:           8
        .value_kind:     global_buffer
      - .actual_access:  read_only
        .address_space:  global
        .offset:         24
        .size:           8
        .value_kind:     global_buffer
      - .actual_access:  read_only
        .address_space:  global
        .offset:         32
        .size:           8
        .value_kind:     global_buffer
      - .offset:         40
        .size:           8
        .value_kind:     by_value
      - .address_space:  global
        .offset:         48
        .size:           8
        .value_kind:     global_buffer
      - .address_space:  global
        .offset:         56
        .size:           8
        .value_kind:     global_buffer
      - .address_space:  global
        .offset:         64
        .size:           8
        .value_kind:     global_buffer
      - .address_space:  global
        .offset:         72
        .size:           8
        .value_kind:     global_buffer
      - .offset:         80
        .size:           4
        .value_kind:     by_value
      - .address_space:  global
        .offset:         88
        .size:           8
        .value_kind:     global_buffer
      - .address_space:  global
        .offset:         96
        .size:           8
        .value_kind:     global_buffer
    .group_segment_fixed_size: 25088
    .kernarg_segment_align: 8
    .kernarg_segment_size: 104
    .language:       OpenCL C
    .language_version:
      - 2
      - 0
    .max_flat_workgroup_size: 224
    .name:           bluestein_single_back_len1568_dim1_dp_op_CI_CI
    .private_segment_fixed_size: 0
    .sgpr_count:     30
    .sgpr_spill_count: 0
    .symbol:         bluestein_single_back_len1568_dim1_dp_op_CI_CI.kd
    .uniform_work_group_size: 1
    .uses_dynamic_stack: false
    .vgpr_count:     183
    .vgpr_spill_count: 0
    .wavefront_size: 32
    .workgroup_processor_mode: 1
amdhsa.target:   amdgcn-amd-amdhsa--gfx1030
amdhsa.version:
  - 1
  - 2
...

	.end_amdgpu_metadata
